;; amdgpu-corpus repo=ROCm/rocFFT kind=compiled arch=gfx906 opt=O3
	.text
	.amdgcn_target "amdgcn-amd-amdhsa--gfx906"
	.amdhsa_code_object_version 6
	.protected	fft_rtc_fwd_len1183_factors_7_13_13_wgs_182_tpt_91_halfLds_sp_op_CI_CI_unitstride_sbrr_dirReg ; -- Begin function fft_rtc_fwd_len1183_factors_7_13_13_wgs_182_tpt_91_halfLds_sp_op_CI_CI_unitstride_sbrr_dirReg
	.globl	fft_rtc_fwd_len1183_factors_7_13_13_wgs_182_tpt_91_halfLds_sp_op_CI_CI_unitstride_sbrr_dirReg
	.p2align	8
	.type	fft_rtc_fwd_len1183_factors_7_13_13_wgs_182_tpt_91_halfLds_sp_op_CI_CI_unitstride_sbrr_dirReg,@function
fft_rtc_fwd_len1183_factors_7_13_13_wgs_182_tpt_91_halfLds_sp_op_CI_CI_unitstride_sbrr_dirReg: ; @fft_rtc_fwd_len1183_factors_7_13_13_wgs_182_tpt_91_halfLds_sp_op_CI_CI_unitstride_sbrr_dirReg
; %bb.0:
	s_load_dwordx4 s[8:11], s[4:5], 0x58
	s_load_dwordx4 s[12:15], s[4:5], 0x0
	;; [unrolled: 1-line block ×3, first 2 shown]
	v_mul_u32_u24_e32 v1, 0x2d1, v0
	v_lshrrev_b32_e32 v37, 16, v1
	v_mov_b32_e32 v3, 0
	s_waitcnt lgkmcnt(0)
	v_cmp_lt_u64_e64 s[0:1], s[14:15], 2
	v_mov_b32_e32 v8, 0
	v_lshl_add_u32 v6, s6, 1, v37
	v_mov_b32_e32 v7, v3
	s_and_b64 vcc, exec, s[0:1]
	v_mov_b32_e32 v9, 0
	s_cbranch_vccnz .LBB0_8
; %bb.1:
	s_load_dwordx2 s[0:1], s[4:5], 0x10
	s_add_u32 s2, s18, 8
	s_addc_u32 s3, s19, 0
	s_add_u32 s6, s16, 8
	s_addc_u32 s7, s17, 0
	v_mov_b32_e32 v8, 0
	s_waitcnt lgkmcnt(0)
	s_add_u32 s20, s0, 8
	v_mov_b32_e32 v9, 0
	v_mov_b32_e32 v1, v8
	s_addc_u32 s21, s1, 0
	s_mov_b64 s[22:23], 1
	v_mov_b32_e32 v2, v9
.LBB0_2:                                ; =>This Inner Loop Header: Depth=1
	s_load_dwordx2 s[24:25], s[20:21], 0x0
	s_waitcnt lgkmcnt(0)
	v_or_b32_e32 v4, s25, v7
	v_cmp_ne_u64_e32 vcc, 0, v[3:4]
                                        ; implicit-def: $vgpr4_vgpr5
	s_and_saveexec_b64 s[0:1], vcc
	s_xor_b64 s[26:27], exec, s[0:1]
	s_cbranch_execz .LBB0_4
; %bb.3:                                ;   in Loop: Header=BB0_2 Depth=1
	v_cvt_f32_u32_e32 v4, s24
	v_cvt_f32_u32_e32 v5, s25
	s_sub_u32 s0, 0, s24
	s_subb_u32 s1, 0, s25
	v_mac_f32_e32 v4, 0x4f800000, v5
	v_rcp_f32_e32 v4, v4
	v_mul_f32_e32 v4, 0x5f7ffffc, v4
	v_mul_f32_e32 v5, 0x2f800000, v4
	v_trunc_f32_e32 v5, v5
	v_mac_f32_e32 v4, 0xcf800000, v5
	v_cvt_u32_f32_e32 v5, v5
	v_cvt_u32_f32_e32 v4, v4
	v_mul_lo_u32 v10, s0, v5
	v_mul_hi_u32 v11, s0, v4
	v_mul_lo_u32 v13, s1, v4
	v_mul_lo_u32 v12, s0, v4
	v_add_u32_e32 v10, v11, v10
	v_add_u32_e32 v10, v10, v13
	v_mul_hi_u32 v11, v4, v12
	v_mul_lo_u32 v13, v4, v10
	v_mul_hi_u32 v15, v4, v10
	v_mul_hi_u32 v14, v5, v12
	v_mul_lo_u32 v12, v5, v12
	v_mul_hi_u32 v16, v5, v10
	v_add_co_u32_e32 v11, vcc, v11, v13
	v_addc_co_u32_e32 v13, vcc, 0, v15, vcc
	v_mul_lo_u32 v10, v5, v10
	v_add_co_u32_e32 v11, vcc, v11, v12
	v_addc_co_u32_e32 v11, vcc, v13, v14, vcc
	v_addc_co_u32_e32 v12, vcc, 0, v16, vcc
	v_add_co_u32_e32 v10, vcc, v11, v10
	v_addc_co_u32_e32 v11, vcc, 0, v12, vcc
	v_add_co_u32_e32 v4, vcc, v4, v10
	v_addc_co_u32_e32 v5, vcc, v5, v11, vcc
	v_mul_lo_u32 v10, s0, v5
	v_mul_hi_u32 v11, s0, v4
	v_mul_lo_u32 v12, s1, v4
	v_mul_lo_u32 v13, s0, v4
	v_add_u32_e32 v10, v11, v10
	v_add_u32_e32 v10, v10, v12
	v_mul_lo_u32 v14, v4, v10
	v_mul_hi_u32 v15, v4, v13
	v_mul_hi_u32 v16, v4, v10
	;; [unrolled: 1-line block ×3, first 2 shown]
	v_mul_lo_u32 v13, v5, v13
	v_mul_hi_u32 v11, v5, v10
	v_add_co_u32_e32 v14, vcc, v15, v14
	v_addc_co_u32_e32 v15, vcc, 0, v16, vcc
	v_mul_lo_u32 v10, v5, v10
	v_add_co_u32_e32 v13, vcc, v14, v13
	v_addc_co_u32_e32 v12, vcc, v15, v12, vcc
	v_addc_co_u32_e32 v11, vcc, 0, v11, vcc
	v_add_co_u32_e32 v10, vcc, v12, v10
	v_addc_co_u32_e32 v11, vcc, 0, v11, vcc
	v_add_co_u32_e32 v10, vcc, v4, v10
	v_addc_co_u32_e32 v11, vcc, v5, v11, vcc
	v_mad_u64_u32 v[4:5], s[0:1], v6, v11, 0
	v_mul_hi_u32 v12, v6, v10
	v_add_co_u32_e32 v12, vcc, v12, v4
	v_addc_co_u32_e32 v13, vcc, 0, v5, vcc
	v_mad_u64_u32 v[4:5], s[0:1], v7, v10, 0
	v_mad_u64_u32 v[10:11], s[0:1], v7, v11, 0
	v_add_co_u32_e32 v4, vcc, v12, v4
	v_addc_co_u32_e32 v4, vcc, v13, v5, vcc
	v_addc_co_u32_e32 v5, vcc, 0, v11, vcc
	v_add_co_u32_e32 v10, vcc, v4, v10
	v_addc_co_u32_e32 v11, vcc, 0, v5, vcc
	v_mul_lo_u32 v12, s25, v10
	v_mul_lo_u32 v13, s24, v11
	v_mad_u64_u32 v[4:5], s[0:1], s24, v10, 0
	v_add3_u32 v5, v5, v13, v12
	v_sub_u32_e32 v12, v7, v5
	v_mov_b32_e32 v13, s25
	v_sub_co_u32_e32 v4, vcc, v6, v4
	v_subb_co_u32_e64 v12, s[0:1], v12, v13, vcc
	v_subrev_co_u32_e64 v13, s[0:1], s24, v4
	v_subbrev_co_u32_e64 v12, s[0:1], 0, v12, s[0:1]
	v_cmp_le_u32_e64 s[0:1], s25, v12
	v_cndmask_b32_e64 v14, 0, -1, s[0:1]
	v_cmp_le_u32_e64 s[0:1], s24, v13
	v_cndmask_b32_e64 v13, 0, -1, s[0:1]
	v_cmp_eq_u32_e64 s[0:1], s25, v12
	v_cndmask_b32_e64 v12, v14, v13, s[0:1]
	v_add_co_u32_e64 v13, s[0:1], 2, v10
	v_addc_co_u32_e64 v14, s[0:1], 0, v11, s[0:1]
	v_add_co_u32_e64 v15, s[0:1], 1, v10
	v_addc_co_u32_e64 v16, s[0:1], 0, v11, s[0:1]
	v_subb_co_u32_e32 v5, vcc, v7, v5, vcc
	v_cmp_ne_u32_e64 s[0:1], 0, v12
	v_cmp_le_u32_e32 vcc, s25, v5
	v_cndmask_b32_e64 v12, v16, v14, s[0:1]
	v_cndmask_b32_e64 v14, 0, -1, vcc
	v_cmp_le_u32_e32 vcc, s24, v4
	v_cndmask_b32_e64 v4, 0, -1, vcc
	v_cmp_eq_u32_e32 vcc, s25, v5
	v_cndmask_b32_e32 v4, v14, v4, vcc
	v_cmp_ne_u32_e32 vcc, 0, v4
	v_cndmask_b32_e64 v4, v15, v13, s[0:1]
	v_cndmask_b32_e32 v5, v11, v12, vcc
	v_cndmask_b32_e32 v4, v10, v4, vcc
.LBB0_4:                                ;   in Loop: Header=BB0_2 Depth=1
	s_andn2_saveexec_b64 s[0:1], s[26:27]
	s_cbranch_execz .LBB0_6
; %bb.5:                                ;   in Loop: Header=BB0_2 Depth=1
	v_cvt_f32_u32_e32 v4, s24
	s_sub_i32 s26, 0, s24
	v_rcp_iflag_f32_e32 v4, v4
	v_mul_f32_e32 v4, 0x4f7ffffe, v4
	v_cvt_u32_f32_e32 v4, v4
	v_mul_lo_u32 v5, s26, v4
	v_mul_hi_u32 v5, v4, v5
	v_add_u32_e32 v4, v4, v5
	v_mul_hi_u32 v4, v6, v4
	v_mul_lo_u32 v5, v4, s24
	v_add_u32_e32 v10, 1, v4
	v_sub_u32_e32 v5, v6, v5
	v_subrev_u32_e32 v11, s24, v5
	v_cmp_le_u32_e32 vcc, s24, v5
	v_cndmask_b32_e32 v5, v5, v11, vcc
	v_cndmask_b32_e32 v4, v4, v10, vcc
	v_add_u32_e32 v10, 1, v4
	v_cmp_le_u32_e32 vcc, s24, v5
	v_cndmask_b32_e32 v4, v4, v10, vcc
	v_mov_b32_e32 v5, v3
.LBB0_6:                                ;   in Loop: Header=BB0_2 Depth=1
	s_or_b64 exec, exec, s[0:1]
	v_mul_lo_u32 v12, v5, s24
	v_mul_lo_u32 v13, v4, s25
	v_mad_u64_u32 v[10:11], s[0:1], v4, s24, 0
	s_load_dwordx2 s[0:1], s[6:7], 0x0
	s_load_dwordx2 s[24:25], s[2:3], 0x0
	v_add3_u32 v11, v11, v13, v12
	v_sub_co_u32_e32 v6, vcc, v6, v10
	v_subb_co_u32_e32 v7, vcc, v7, v11, vcc
	s_waitcnt lgkmcnt(0)
	v_mul_lo_u32 v10, s0, v7
	v_mul_lo_u32 v11, s1, v6
	v_mad_u64_u32 v[8:9], s[0:1], s0, v6, v[8:9]
	v_mul_lo_u32 v7, s24, v7
	v_mul_lo_u32 v12, s25, v6
	v_mad_u64_u32 v[1:2], s[0:1], s24, v6, v[1:2]
	s_add_u32 s22, s22, 1
	s_addc_u32 s23, s23, 0
	s_add_u32 s2, s2, 8
	v_add3_u32 v2, v12, v2, v7
	s_addc_u32 s3, s3, 0
	v_mov_b32_e32 v6, s14
	s_add_u32 s6, s6, 8
	v_mov_b32_e32 v7, s15
	s_addc_u32 s7, s7, 0
	v_cmp_ge_u64_e32 vcc, s[22:23], v[6:7]
	s_add_u32 s20, s20, 8
	v_add3_u32 v9, v11, v9, v10
	s_addc_u32 s21, s21, 0
	s_cbranch_vccnz .LBB0_9
; %bb.7:                                ;   in Loop: Header=BB0_2 Depth=1
	v_mov_b32_e32 v7, v5
	v_mov_b32_e32 v6, v4
	s_branch .LBB0_2
.LBB0_8:
	v_mov_b32_e32 v1, v8
	v_mov_b32_e32 v4, v6
	;; [unrolled: 1-line block ×4, first 2 shown]
.LBB0_9:
	s_load_dwordx2 s[4:5], s[4:5], 0x28
	s_lshl_b64 s[6:7], s[14:15], 3
	s_add_u32 s2, s18, s6
	s_addc_u32 s3, s19, s7
                                        ; implicit-def: $sgpr15
                                        ; implicit-def: $sgpr14
                                        ; implicit-def: $vgpr36
	s_waitcnt lgkmcnt(0)
	v_cmp_gt_u64_e64 s[0:1], s[4:5], v[4:5]
	v_cmp_le_u64_e32 vcc, s[4:5], v[4:5]
	s_and_saveexec_b64 s[4:5], vcc
	s_xor_b64 s[4:5], exec, s[4:5]
; %bb.10:
	s_mov_b32 s14, 0x2d02d03
	v_mul_hi_u32 v3, v0, s14
	s_mov_b32 s14, 0
	s_mov_b32 s15, 0
                                        ; implicit-def: $vgpr8_vgpr9
	v_mul_u32_u24_e32 v3, 0x5b, v3
	v_sub_u32_e32 v36, v0, v3
                                        ; implicit-def: $vgpr0
; %bb.11:
	s_or_saveexec_b64 s[4:5], s[4:5]
	s_load_dwordx2 s[2:3], s[2:3], 0x0
	v_mov_b32_e32 v7, s14
	v_mov_b32_e32 v3, s15
	;; [unrolled: 1-line block ×9, first 2 shown]
                                        ; implicit-def: $vgpr19
                                        ; implicit-def: $vgpr25
                                        ; implicit-def: $vgpr27
                                        ; implicit-def: $vgpr29
                                        ; implicit-def: $vgpr17
                                        ; implicit-def: $vgpr33
                                        ; implicit-def: $vgpr35
                                        ; implicit-def: $vgpr31
                                        ; implicit-def: $vgpr23
                                        ; implicit-def: $vgpr21
	s_xor_b64 exec, exec, s[4:5]
	s_cbranch_execz .LBB0_15
; %bb.12:
	s_add_u32 s6, s16, s6
	s_addc_u32 s7, s17, s7
	s_load_dwordx2 s[6:7], s[6:7], 0x0
	s_mov_b32 s14, 0x2d02d03
	v_mul_hi_u32 v3, v0, s14
	v_mov_b32_e32 v14, 0
	v_mov_b32_e32 v15, 0
	s_waitcnt lgkmcnt(0)
	v_mul_lo_u32 v10, s7, v4
	v_mul_lo_u32 v11, s6, v5
	v_mad_u64_u32 v[6:7], s[6:7], s6, v4, 0
	v_mul_u32_u24_e32 v3, 0x5b, v3
	v_sub_u32_e32 v36, v0, v3
	v_add3_u32 v7, v7, v11, v10
	v_lshlrev_b64 v[6:7], 3, v[6:7]
	v_mov_b32_e32 v0, s9
	v_add_co_u32_e32 v3, vcc, s8, v6
	v_addc_co_u32_e32 v0, vcc, v0, v7, vcc
	v_lshlrev_b64 v[6:7], 3, v[8:9]
	s_movk_i32 s6, 0x4e
	v_add_co_u32_e32 v3, vcc, v3, v6
	v_addc_co_u32_e32 v0, vcc, v0, v7, vcc
	v_lshlrev_b32_e32 v6, 3, v36
	v_add_co_u32_e32 v8, vcc, v3, v6
	v_addc_co_u32_e32 v9, vcc, 0, v0, vcc
	v_add_co_u32_e32 v6, vcc, 0x1000, v8
	v_addc_co_u32_e32 v7, vcc, 0, v9, vcc
	global_load_dwordx2 v[16:17], v[6:7], off offset:1312
	global_load_dwordx2 v[32:33], v[6:7], off offset:2664
	;; [unrolled: 1-line block ×3, first 2 shown]
	global_load_dwordx2 v[18:19], v[8:9], off
	global_load_dwordx2 v[24:25], v[8:9], off offset:1352
	global_load_dwordx2 v[26:27], v[8:9], off offset:2704
	;; [unrolled: 1-line block ×3, first 2 shown]
	v_cmp_gt_u32_e32 vcc, s6, v36
	v_mov_b32_e32 v10, 0
	v_mov_b32_e32 v11, 0
	;; [unrolled: 1-line block ×6, first 2 shown]
                                        ; implicit-def: $vgpr20
                                        ; implicit-def: $vgpr22
                                        ; implicit-def: $vgpr30
	s_and_saveexec_b64 s[6:7], vcc
	s_cbranch_execz .LBB0_14
; %bb.13:
	v_add_co_u32_e32 v38, vcc, 0x1000, v8
	v_addc_co_u32_e32 v39, vcc, 0, v9, vcc
	global_load_dwordx2 v[6:7], v[8:9], off offset:728
	global_load_dwordx2 v[12:13], v[8:9], off offset:2080
	global_load_dwordx2 v[10:11], v[8:9], off offset:3432
	global_load_dwordx2 v[20:21], v[38:39], off offset:688
	v_add_co_u32_e32 v8, vcc, 0x2000, v8
	v_addc_co_u32_e32 v9, vcc, 0, v9, vcc
	global_load_dwordx2 v[14:15], v[38:39], off offset:2040
	global_load_dwordx2 v[22:23], v[38:39], off offset:3392
	;; [unrolled: 1-line block ×3, first 2 shown]
.LBB0_14:
	s_or_b64 exec, exec, s[6:7]
	v_mov_b32_e32 v3, v36
.LBB0_15:
	s_or_b64 exec, exec, s[4:5]
	v_and_b32_e32 v0, 1, v37
	v_mov_b32_e32 v8, 0x49f
	v_cmp_eq_u32_e32 vcc, 1, v0
	v_cndmask_b32_e32 v0, 0, v8, vcc
	s_waitcnt vmcnt(2)
	v_add_f32_e32 v8, v24, v34
	s_waitcnt vmcnt(1)
	v_add_f32_e32 v37, v26, v32
	;; [unrolled: 2-line block ×3, first 2 shown]
	v_add_f32_e32 v41, v37, v8
	v_sub_f32_e32 v38, v27, v33
	v_sub_f32_e32 v40, v17, v29
	;; [unrolled: 1-line block ×5, first 2 shown]
	v_add_f32_e32 v39, v39, v41
	v_sub_f32_e32 v9, v25, v35
	v_add_f32_e32 v43, v40, v38
	v_sub_f32_e32 v44, v40, v38
	;; [unrolled: 2-line block ×3, first 2 shown]
	v_sub_f32_e32 v38, v38, v9
	v_add_f32_e32 v9, v43, v9
	v_mul_f32_e32 v8, 0x3f4a47b2, v8
	v_mul_f32_e32 v41, 0x3d64c772, v37
	;; [unrolled: 1-line block ×3, first 2 shown]
	s_mov_b32 s6, 0x3f5ff5aa
	v_mov_b32_e32 v45, v18
	s_mov_b32 s7, 0x3f3bfb3b
	s_mov_b32 s8, 0xbf3bfb3b
	v_mul_f32_e32 v44, 0x3f5ff5aa, v38
	v_fmac_f32_e32 v45, 0xbf955555, v39
	v_fma_f32 v39, v42, s7, -v41
	v_fma_f32 v41, v42, s8, -v8
	v_fmac_f32_e32 v8, 0x3d64c772, v37
	v_fma_f32 v37, v38, s6, -v43
	v_fmac_f32_e32 v43, 0x3eae86e6, v40
	s_mov_b32 s9, 0xbeae86e6
	v_fma_f32 v38, v40, s9, -v44
	v_add_f32_e32 v8, v8, v45
	v_add_f32_e32 v39, v39, v45
	v_fmac_f32_e32 v43, 0x3ee1c552, v9
	v_fmac_f32_e32 v37, 0x3ee1c552, v9
	v_add_f32_e32 v40, v41, v45
	v_fmac_f32_e32 v38, 0x3ee1c552, v9
	v_add_f32_e32 v9, v43, v8
	v_sub_f32_e32 v42, v39, v37
	v_add_f32_e32 v37, v37, v39
	v_sub_f32_e32 v39, v8, v43
	v_mad_u32_u24 v8, v36, 28, 0
	s_movk_i32 s4, 0x4e
	v_add_f32_e32 v41, v38, v40
	v_sub_f32_e32 v38, v40, v38
	v_lshl_add_u32 v40, v0, 2, v8
	v_cmp_gt_u32_e32 vcc, s4, v36
	ds_write2_b32 v40, v18, v9 offset1:1
	ds_write2_b32 v40, v41, v42 offset0:2 offset1:3
	ds_write2_b32 v40, v37, v38 offset0:4 offset1:5
	ds_write_b32 v40, v39 offset:24
	s_and_saveexec_b64 s[4:5], vcc
	s_cbranch_execz .LBB0_17
; %bb.16:
	v_add_f32_e32 v18, v14, v20
	v_add_f32_e32 v39, v10, v22
	v_sub_f32_e32 v41, v18, v39
	v_add_f32_e32 v9, v12, v30
	v_mul_f32_e32 v41, 0x3d64c772, v41
	v_sub_f32_e32 v37, v9, v18
	v_mov_b32_e32 v42, v41
	v_mul_f32_e32 v38, 0x3f4a47b2, v37
	v_fmac_f32_e32 v42, 0x3f4a47b2, v37
	v_add_f32_e32 v37, v9, v39
	v_add_f32_e32 v18, v37, v18
	;; [unrolled: 1-line block ×3, first 2 shown]
	v_mov_b32_e32 v37, v6
	v_sub_f32_e32 v43, v15, v21
	v_sub_f32_e32 v45, v11, v23
	v_fmac_f32_e32 v37, 0xbf955555, v18
	v_sub_f32_e32 v46, v43, v45
	v_add_f32_e32 v18, v42, v37
	v_sub_f32_e32 v42, v13, v31
	v_mul_f32_e32 v46, 0xbf08b237, v46
	v_sub_f32_e32 v44, v42, v43
	v_mov_b32_e32 v47, v46
	v_add_f32_e32 v43, v45, v43
	v_sub_f32_e32 v9, v39, v9
	v_sub_f32_e32 v39, v45, v42
	v_fmac_f32_e32 v47, 0x3eae86e6, v44
	v_add_f32_e32 v43, v42, v43
	v_fma_f32 v38, v9, s8, -v38
	v_mul_f32_e32 v42, 0x3f5ff5aa, v39
	v_fma_f32 v39, v39, s6, -v46
	v_fma_f32 v9, v9, s7, -v41
	v_fmac_f32_e32 v47, 0x3ee1c552, v43
	v_fma_f32 v42, v44, s9, -v42
	v_fmac_f32_e32 v39, 0x3ee1c552, v43
	v_add_f32_e32 v9, v9, v37
	v_sub_f32_e32 v48, v18, v47
	v_add_f32_e32 v38, v38, v37
	v_fmac_f32_e32 v42, 0x3ee1c552, v43
	v_add_f32_e32 v37, v39, v9
	v_sub_f32_e32 v9, v9, v39
	v_add_f32_e32 v18, v47, v18
	v_add_u32_e32 v39, 0x9f4, v40
	v_sub_f32_e32 v44, v38, v42
	v_add_f32_e32 v38, v42, v38
	ds_write2_b32 v39, v6, v18 offset1:1
	v_add_u32_e32 v6, 0x9fc, v40
	ds_write2_b32 v6, v38, v9 offset1:1
	v_add_u32_e32 v6, 0xa04, v40
	ds_write2_b32 v6, v37, v44 offset1:1
	ds_write_b32 v40, v48 offset:2572
.LBB0_17:
	s_or_b64 exec, exec, s[4:5]
	v_add_f32_e32 v6, v25, v35
	v_add_f32_e32 v18, v27, v33
	;; [unrolled: 1-line block ×4, first 2 shown]
	v_sub_f32_e32 v9, v24, v34
	v_sub_f32_e32 v24, v26, v32
	;; [unrolled: 1-line block ×6, first 2 shown]
	v_add_f32_e32 v17, v17, v25
	v_sub_f32_e32 v28, v16, v24
	v_add_f32_e32 v41, v17, v19
	v_add_f32_e32 v27, v16, v24
	v_sub_f32_e32 v16, v9, v16
	v_sub_f32_e32 v24, v24, v9
	v_mul_f32_e32 v6, 0x3f4a47b2, v6
	v_mul_f32_e32 v19, 0x3d64c772, v18
	;; [unrolled: 1-line block ×3, first 2 shown]
	v_mov_b32_e32 v28, v41
	v_lshlrev_b32_e32 v38, 2, v0
	v_lshlrev_b32_e32 v0, 2, v36
	v_add_f32_e32 v9, v27, v9
	v_mul_f32_e32 v27, 0x3f5ff5aa, v24
	v_fmac_f32_e32 v28, 0xbf955555, v17
	v_fma_f32 v17, v26, s7, -v19
	v_fma_f32 v19, v26, s8, -v6
	v_fmac_f32_e32 v6, 0x3d64c772, v18
	v_fma_f32 v18, v24, s6, -v25
	v_fmac_f32_e32 v25, 0x3eae86e6, v16
	v_add3_u32 v32, 0, v38, v0
	v_mul_i32_i24_e32 v0, 0xffffffe8, v36
	v_fma_f32 v16, v16, s9, -v27
	v_add_f32_e32 v6, v6, v28
	v_fmac_f32_e32 v25, 0x3ee1c552, v9
	v_add3_u32 v0, v8, v0, v38
	v_add_f32_e32 v17, v17, v28
	v_add_f32_e32 v19, v19, v28
	v_fmac_f32_e32 v18, 0x3ee1c552, v9
	v_fmac_f32_e32 v16, 0x3ee1c552, v9
	v_sub_f32_e32 v42, v6, v25
	v_add_f32_e32 v47, v25, v6
	v_add_u32_e32 v6, 0x400, v0
	v_add_u32_e32 v33, 0x600, v0
	v_add_u32_e32 v34, 0x800, v0
	v_add_u32_e32 v35, 0xc00, v0
	v_add_u32_e32 v37, 0xe00, v0
	v_sub_f32_e32 v43, v19, v16
	v_add_f32_e32 v44, v18, v17
	v_sub_f32_e32 v45, v17, v18
	v_add_f32_e32 v46, v16, v19
	s_waitcnt lgkmcnt(0)
	s_barrier
	ds_read_b32 v39, v32
	ds_read2_b32 v[28:29], v0 offset0:91 offset1:182
	ds_read2_b32 v[26:27], v6 offset0:17 offset1:108
	;; [unrolled: 1-line block ×6, first 2 shown]
	s_waitcnt lgkmcnt(0)
	s_barrier
	ds_write2_b32 v40, v41, v42 offset1:1
	ds_write2_b32 v40, v43, v44 offset0:2 offset1:3
	ds_write2_b32 v40, v45, v46 offset0:4 offset1:5
	ds_write_b32 v40, v47 offset:24
	s_and_saveexec_b64 s[4:5], vcc
	s_cbranch_execz .LBB0_19
; %bb.18:
	v_add_f32_e32 v13, v13, v31
	v_add_f32_e32 v11, v11, v23
	;; [unrolled: 1-line block ×3, first 2 shown]
	v_sub_f32_e32 v14, v14, v20
	v_add_f32_e32 v20, v13, v11
	v_sub_f32_e32 v10, v10, v22
	v_sub_f32_e32 v21, v11, v13
	;; [unrolled: 1-line block ×4, first 2 shown]
	v_add_f32_e32 v15, v20, v15
	v_sub_f32_e32 v12, v12, v30
	v_add_f32_e32 v22, v10, v14
	v_sub_f32_e32 v23, v14, v10
	;; [unrolled: 2-line block ×3, first 2 shown]
	v_sub_f32_e32 v10, v10, v12
	v_add_f32_e32 v12, v12, v22
	v_mul_f32_e32 v11, 0x3d64c772, v11
	v_mul_f32_e32 v22, 0xbf08b237, v23
	v_mov_b32_e32 v30, v7
	v_mul_f32_e32 v20, 0x3f4a47b2, v13
	v_mul_f32_e32 v23, 0x3f5ff5aa, v10
	v_fmac_f32_e32 v30, 0xbf955555, v15
	v_fma_f32 v15, v21, s7, -v11
	s_mov_b32 s7, 0xbf3bfb3b
	v_fma_f32 v10, v10, s6, -v22
	s_mov_b32 s6, 0xbeae86e6
	v_fmac_f32_e32 v11, 0x3f4a47b2, v13
	v_fma_f32 v13, v21, s7, -v20
	v_fmac_f32_e32 v22, 0x3eae86e6, v14
	v_fma_f32 v14, v14, s6, -v23
	v_add_f32_e32 v13, v13, v30
	v_fmac_f32_e32 v14, 0x3ee1c552, v12
	v_sub_f32_e32 v20, v13, v14
	v_add_f32_e32 v13, v13, v14
	v_add_u32_e32 v14, 0x5b, v36
	v_add_f32_e32 v11, v11, v30
	v_fmac_f32_e32 v22, 0x3ee1c552, v12
	v_mul_u32_u24_e32 v14, 28, v14
	v_add_f32_e32 v15, v15, v30
	v_fmac_f32_e32 v10, 0x3ee1c552, v12
	v_sub_f32_e32 v12, v11, v22
	v_add3_u32 v14, 0, v14, v38
	v_add_f32_e32 v21, v15, v10
	v_sub_f32_e32 v10, v15, v10
	v_add_f32_e32 v11, v11, v22
	ds_write2_b32 v14, v7, v12 offset1:1
	ds_write2_b32 v14, v20, v21 offset0:2 offset1:3
	ds_write2_b32 v14, v10, v13 offset0:4 offset1:5
	ds_write_b32 v14, v11 offset:24
.LBB0_19:
	s_or_b64 exec, exec, s[4:5]
	v_mov_b32_e32 v7, 37
	v_mul_lo_u16_sdwa v7, v36, v7 dst_sel:DWORD dst_unused:UNUSED_PAD src0_sel:BYTE_0 src1_sel:DWORD
	v_sub_u16_sdwa v10, v36, v7 dst_sel:DWORD dst_unused:UNUSED_PAD src0_sel:DWORD src1_sel:BYTE_1
	v_lshrrev_b16_e32 v10, 1, v10
	v_and_b32_e32 v10, 0x7f, v10
	v_add_u16_sdwa v7, v10, v7 dst_sel:DWORD dst_unused:UNUSED_PAD src0_sel:DWORD src1_sel:BYTE_1
	v_lshrrev_b16_e32 v7, 2, v7
	v_mul_lo_u16_e32 v10, 7, v7
	v_sub_u16_e32 v10, v36, v10
	v_mov_b32_e32 v11, 12
	v_mul_u32_u24_sdwa v11, v10, v11 dst_sel:DWORD dst_unused:UNUSED_PAD src0_sel:BYTE_0 src1_sel:DWORD
	v_lshlrev_b32_e32 v15, 3, v11
	s_waitcnt lgkmcnt(0)
	s_barrier
	global_load_dwordx4 v[11:14], v15, s[12:13]
	global_load_dwordx4 v[20:23], v15, s[12:13] offset:16
	global_load_dwordx4 v[40:43], v15, s[12:13] offset:32
	;; [unrolled: 1-line block ×5, first 2 shown]
	ds_read2_b32 v[30:31], v0 offset0:91 offset1:182
	ds_read_b32 v15, v32
	ds_read2_b32 v[56:57], v6 offset0:17 offset1:108
	ds_read2_b32 v[58:59], v33 offset0:71 offset1:162
	;; [unrolled: 1-line block ×5, first 2 shown]
	s_mov_b32 s4, 0x3f62ad3f
	s_mov_b32 s5, 0x3f116cb1
	;; [unrolled: 1-line block ×6, first 2 shown]
	s_movk_i32 s14, 0x16c
	v_mad_u32_u24 v7, v7, s14, 0
	s_waitcnt vmcnt(0) lgkmcnt(0)
	s_barrier
	v_mul_f32_e32 v66, v30, v12
	v_mul_f32_e32 v12, v28, v12
	;; [unrolled: 1-line block ×10, first 2 shown]
	v_fma_f32 v28, v28, v11, -v66
	v_fmac_f32_e32 v12, v30, v11
	v_mul_f32_e32 v41, v24, v41
	v_mul_f32_e32 v43, v25, v43
	v_fma_f32 v29, v29, v13, -v67
	v_fmac_f32_e32 v14, v31, v13
	v_fma_f32 v11, v26, v20, -v68
	v_fma_f32 v13, v27, v22, -v69
	v_fmac_f32_e32 v21, v56, v20
	v_fmac_f32_e32 v23, v57, v22
	v_fma_f32 v20, v24, v40, -v70
	v_fma_f32 v22, v25, v42, -v71
	v_add_f32_e32 v24, v39, v28
	v_add_f32_e32 v25, v15, v12
	;; [unrolled: 1-line block ×6, first 2 shown]
	v_fmac_f32_e32 v41, v58, v40
	v_add_f32_e32 v24, v24, v13
	v_add_f32_e32 v25, v25, v23
	v_mul_f32_e32 v72, v60, v45
	v_mul_f32_e32 v45, v18, v45
	v_fmac_f32_e32 v43, v59, v42
	v_add_f32_e32 v24, v24, v20
	v_add_f32_e32 v25, v25, v41
	v_mul_f32_e32 v73, v61, v47
	v_mul_f32_e32 v47, v19, v47
	v_fma_f32 v18, v18, v44, -v72
	v_fmac_f32_e32 v45, v60, v44
	v_add_f32_e32 v24, v24, v22
	v_add_f32_e32 v25, v25, v43
	v_mul_f32_e32 v74, v62, v49
	v_mul_f32_e32 v49, v16, v49
	v_fma_f32 v19, v19, v46, -v73
	v_fmac_f32_e32 v47, v61, v46
	v_add_f32_e32 v24, v24, v18
	v_add_f32_e32 v25, v25, v45
	v_mul_f32_e32 v75, v63, v51
	v_mul_f32_e32 v51, v17, v51
	;; [unrolled: 1-line block ×4, first 2 shown]
	v_fma_f32 v16, v16, v48, -v74
	v_fmac_f32_e32 v49, v62, v48
	v_add_f32_e32 v24, v24, v19
	v_add_f32_e32 v25, v25, v47
	v_mul_f32_e32 v76, v64, v53
	v_mul_f32_e32 v53, v8, v53
	v_fma_f32 v17, v17, v50, -v75
	v_fmac_f32_e32 v51, v63, v50
	v_fma_f32 v9, v9, v54, -v77
	v_fmac_f32_e32 v55, v65, v54
	v_add_f32_e32 v24, v24, v16
	v_add_f32_e32 v25, v25, v49
	v_fma_f32 v8, v8, v52, -v76
	v_fmac_f32_e32 v53, v64, v52
	v_add_f32_e32 v26, v28, v9
	v_add_f32_e32 v27, v12, v55
	v_sub_f32_e32 v28, v28, v9
	v_sub_f32_e32 v12, v12, v55
	v_add_f32_e32 v24, v24, v17
	v_add_f32_e32 v25, v25, v51
	v_mul_f32_e32 v30, 0xbeedf032, v12
	v_add_f32_e32 v24, v24, v8
	v_add_f32_e32 v25, v25, v53
	v_mul_f32_e32 v31, 0xbeedf032, v28
	v_mul_f32_e32 v42, 0xbf52af12, v12
	;; [unrolled: 1-line block ×11, first 2 shown]
	v_add_f32_e32 v9, v24, v9
	v_add_f32_e32 v24, v25, v55
	v_fma_f32 v25, v26, s4, -v30
	v_mov_b32_e32 v40, v31
	v_fmac_f32_e32 v30, 0x3f62ad3f, v26
	v_fma_f32 v44, v26, s5, -v42
	v_mov_b32_e32 v48, v46
	v_fmac_f32_e32 v42, 0x3f116cb1, v26
	;; [unrolled: 3-line block ×5, first 2 shown]
	v_fma_f32 v64, v26, s9, -v12
	v_fmac_f32_e32 v12, 0xbf788fa5, v26
	v_mov_b32_e32 v26, v28
	v_fmac_f32_e32 v40, 0x3f62ad3f, v27
	v_fma_f32 v31, v27, s4, -v31
	v_fmac_f32_e32 v48, 0x3f116cb1, v27
	v_fma_f32 v46, v27, s5, -v46
	;; [unrolled: 2-line block ×6, first 2 shown]
	v_add_f32_e32 v28, v14, v53
	v_sub_f32_e32 v14, v14, v53
	v_add_f32_e32 v40, v15, v40
	v_add_f32_e32 v31, v15, v31
	;; [unrolled: 1-line block ×13, first 2 shown]
	v_sub_f32_e32 v8, v29, v8
	v_mul_f32_e32 v29, 0xbf52af12, v14
	v_add_f32_e32 v25, v39, v25
	v_add_f32_e32 v30, v39, v30
	;; [unrolled: 1-line block ×12, first 2 shown]
	v_fma_f32 v39, v27, s5, -v29
	v_add_f32_e32 v25, v39, v25
	v_mul_f32_e32 v39, 0xbf52af12, v8
	v_fmac_f32_e32 v29, 0x3f116cb1, v27
	v_add_f32_e32 v29, v29, v30
	v_fma_f32 v30, v28, s5, -v39
	v_add_f32_e32 v30, v30, v31
	v_mul_f32_e32 v31, 0xbf6f5d39, v14
	v_mov_b32_e32 v53, v39
	v_fma_f32 v39, v27, s7, -v31
	v_fmac_f32_e32 v53, 0x3f116cb1, v28
	v_add_f32_e32 v39, v39, v44
	v_mul_f32_e32 v44, 0xbf6f5d39, v8
	v_fmac_f32_e32 v31, 0xbeb58ec6, v27
	v_add_f32_e32 v40, v53, v40
	v_mov_b32_e32 v53, v44
	v_add_f32_e32 v31, v31, v42
	v_fma_f32 v42, v28, s7, -v44
	v_mul_f32_e32 v44, 0xbe750f2a, v14
	v_add_f32_e32 v42, v42, v46
	v_fma_f32 v46, v27, s9, -v44
	v_fmac_f32_e32 v53, 0xbeb58ec6, v28
	v_add_f32_e32 v46, v46, v52
	v_mul_f32_e32 v52, 0xbe750f2a, v8
	v_add_f32_e32 v48, v53, v48
	v_mov_b32_e32 v53, v52
	v_fmac_f32_e32 v44, 0xbf788fa5, v27
	v_fmac_f32_e32 v53, 0xbf788fa5, v28
	v_add_f32_e32 v44, v44, v50
	v_fma_f32 v50, v28, s9, -v52
	v_mul_f32_e32 v52, 0x3f29c268, v14
	v_add_f32_e32 v53, v53, v55
	v_add_f32_e32 v50, v50, v54
	v_fma_f32 v54, v27, s8, -v52
	v_mul_f32_e32 v55, 0x3f29c268, v8
	v_add_f32_e32 v54, v54, v57
	v_mov_b32_e32 v57, v55
	v_fmac_f32_e32 v52, 0xbf3f9e67, v27
	v_fmac_f32_e32 v57, 0xbf3f9e67, v28
	v_add_f32_e32 v52, v52, v56
	v_fma_f32 v55, v28, s8, -v55
	v_mul_f32_e32 v56, 0x3f7e222b, v14
	v_add_f32_e32 v57, v57, v59
	v_add_f32_e32 v55, v55, v58
	v_fma_f32 v58, v27, s6, -v56
	v_mul_f32_e32 v59, 0x3f7e222b, v8
	v_fmac_f32_e32 v56, 0x3df6dbef, v27
	v_mul_f32_e32 v14, 0x3eedf032, v14
	v_add_f32_e32 v58, v58, v61
	v_mov_b32_e32 v61, v59
	v_add_f32_e32 v56, v56, v60
	v_fma_f32 v59, v28, s6, -v59
	v_fma_f32 v60, v27, s4, -v14
	v_mul_f32_e32 v8, 0x3eedf032, v8
	v_fmac_f32_e32 v14, 0x3f62ad3f, v27
	v_add_f32_e32 v59, v59, v62
	v_mov_b32_e32 v62, v8
	v_add_f32_e32 v12, v14, v12
	v_fma_f32 v8, v28, s4, -v8
	v_add_f32_e32 v14, v11, v17
	v_sub_f32_e32 v11, v11, v17
	v_sub_f32_e32 v17, v21, v51
	v_add_f32_e32 v8, v8, v15
	v_add_f32_e32 v15, v21, v51
	v_mul_f32_e32 v21, 0xbf7e222b, v17
	v_fma_f32 v27, v14, s6, -v21
	v_add_f32_e32 v25, v27, v25
	v_mul_f32_e32 v27, 0xbf7e222b, v11
	v_fmac_f32_e32 v21, 0x3df6dbef, v14
	v_fmac_f32_e32 v61, 0x3df6dbef, v28
	;; [unrolled: 1-line block ×3, first 2 shown]
	v_mov_b32_e32 v28, v27
	v_add_f32_e32 v21, v21, v29
	v_fma_f32 v27, v15, s6, -v27
	v_mul_f32_e32 v29, 0xbe750f2a, v17
	v_add_f32_e32 v27, v27, v30
	v_fma_f32 v30, v14, s9, -v29
	v_fmac_f32_e32 v28, 0x3df6dbef, v15
	v_add_f32_e32 v30, v30, v39
	v_mul_f32_e32 v39, 0xbe750f2a, v11
	v_fmac_f32_e32 v29, 0xbf788fa5, v14
	v_add_f32_e32 v28, v28, v40
	v_mov_b32_e32 v40, v39
	v_add_f32_e32 v29, v29, v31
	v_fma_f32 v31, v15, s9, -v39
	v_mul_f32_e32 v39, 0x3f6f5d39, v17
	v_add_f32_e32 v31, v31, v42
	v_fma_f32 v42, v14, s7, -v39
	v_fmac_f32_e32 v40, 0xbf788fa5, v15
	v_add_f32_e32 v42, v42, v46
	v_mul_f32_e32 v46, 0x3f6f5d39, v11
	v_fmac_f32_e32 v39, 0xbeb58ec6, v14
	v_add_f32_e32 v40, v40, v48
	v_mov_b32_e32 v48, v46
	v_add_f32_e32 v39, v39, v44
	v_fma_f32 v44, v15, s7, -v46
	v_mul_f32_e32 v46, 0x3eedf032, v17
	v_fmac_f32_e32 v48, 0xbeb58ec6, v15
	v_add_f32_e32 v44, v44, v50
	v_fma_f32 v50, v14, s4, -v46
	v_mul_f32_e32 v51, 0x3eedf032, v11
	v_fmac_f32_e32 v46, 0x3f62ad3f, v14
	v_add_f32_e32 v48, v48, v53
	v_mov_b32_e32 v53, v51
	v_add_f32_e32 v46, v46, v52
	v_fma_f32 v51, v15, s4, -v51
	v_mul_f32_e32 v52, 0xbf52af12, v17
	v_add_f32_e32 v50, v50, v54
	v_fmac_f32_e32 v53, 0x3f62ad3f, v15
	v_add_f32_e32 v51, v51, v55
	v_fma_f32 v54, v14, s5, -v52
	v_mul_f32_e32 v55, 0xbf52af12, v11
	v_mul_f32_e32 v11, 0xbf29c268, v11
	v_add_f32_e32 v53, v53, v57
	v_add_f32_e32 v54, v54, v58
	v_mov_b32_e32 v57, v55
	v_mov_b32_e32 v58, v11
	v_fmac_f32_e32 v57, 0x3f116cb1, v15
	v_fmac_f32_e32 v52, 0x3f116cb1, v14
	v_fma_f32 v55, v15, s5, -v55
	v_mul_f32_e32 v17, 0xbf29c268, v17
	v_fmac_f32_e32 v58, 0xbf3f9e67, v15
	v_fma_f32 v11, v15, s8, -v11
	v_sub_f32_e32 v15, v23, v49
	v_add_f32_e32 v52, v52, v56
	v_fma_f32 v56, v14, s8, -v17
	v_fmac_f32_e32 v17, 0xbf3f9e67, v14
	v_add_f32_e32 v8, v11, v8
	v_add_f32_e32 v11, v13, v16
	v_sub_f32_e32 v13, v13, v16
	v_mul_f32_e32 v16, 0xbf6f5d39, v15
	v_add_f32_e32 v12, v17, v12
	v_add_f32_e32 v14, v23, v49
	v_fma_f32 v17, v11, s7, -v16
	v_mul_f32_e32 v23, 0xbf6f5d39, v13
	v_add_f32_e32 v17, v17, v25
	v_mov_b32_e32 v25, v23
	v_fmac_f32_e32 v16, 0xbeb58ec6, v11
	v_fmac_f32_e32 v25, 0xbeb58ec6, v14
	v_add_f32_e32 v16, v16, v21
	v_fma_f32 v21, v14, s7, -v23
	v_mul_f32_e32 v23, 0x3f29c268, v15
	v_add_f32_e32 v25, v25, v28
	v_add_f32_e32 v21, v21, v27
	v_fma_f32 v27, v11, s8, -v23
	v_mul_f32_e32 v28, 0x3f29c268, v13
	v_add_f32_e32 v27, v27, v30
	v_mov_b32_e32 v30, v28
	v_fmac_f32_e32 v23, 0xbf3f9e67, v11
	v_fmac_f32_e32 v30, 0xbf3f9e67, v14
	v_add_f32_e32 v23, v23, v29
	v_fma_f32 v28, v14, s8, -v28
	;; [unrolled: 11-line block ×3, first 2 shown]
	v_mul_f32_e32 v40, 0xbf7e222b, v15
	v_add_f32_e32 v42, v42, v48
	v_add_f32_e32 v39, v39, v44
	v_fma_f32 v44, v11, s6, -v40
	v_mul_f32_e32 v48, 0xbf7e222b, v13
	v_fmac_f32_e32 v40, 0x3df6dbef, v11
	v_mov_b32_e32 v49, v48
	v_add_f32_e32 v40, v40, v46
	v_fma_f32 v46, v14, s6, -v48
	v_mul_f32_e32 v48, 0x3e750f2a, v15
	v_add_f32_e32 v44, v44, v50
	v_fma_f32 v50, v11, s9, -v48
	v_fmac_f32_e32 v48, 0xbf788fa5, v11
	v_mul_f32_e32 v15, 0x3f52af12, v15
	v_fmac_f32_e32 v49, 0x3df6dbef, v14
	v_add_f32_e32 v46, v46, v51
	v_mul_f32_e32 v51, 0x3e750f2a, v13
	v_add_f32_e32 v48, v48, v52
	v_fma_f32 v52, v11, s5, -v15
	v_mul_f32_e32 v13, 0x3f52af12, v13
	v_fmac_f32_e32 v15, 0x3f116cb1, v11
	v_add_f32_e32 v49, v49, v53
	v_add_f32_e32 v50, v50, v54
	v_mov_b32_e32 v53, v51
	v_mov_b32_e32 v54, v13
	v_add_f32_e32 v11, v15, v12
	v_fma_f32 v12, v14, s5, -v13
	v_sub_f32_e32 v15, v41, v47
	v_fmac_f32_e32 v53, 0xbf788fa5, v14
	v_fma_f32 v51, v14, s9, -v51
	v_fmac_f32_e32 v54, 0x3f116cb1, v14
	v_add_f32_e32 v8, v12, v8
	v_add_f32_e32 v12, v20, v19
	v_sub_f32_e32 v14, v20, v19
	v_mul_f32_e32 v19, 0xbf29c268, v15
	v_fma_f32 v20, v12, s8, -v19
	v_add_f32_e32 v13, v41, v47
	v_add_f32_e32 v17, v20, v17
	v_mul_f32_e32 v20, 0xbf29c268, v14
	v_fmac_f32_e32 v19, 0xbf3f9e67, v12
	v_mov_b32_e32 v41, v20
	v_add_f32_e32 v16, v19, v16
	v_fma_f32 v19, v13, s8, -v20
	v_mul_f32_e32 v20, 0x3f7e222b, v15
	v_add_f32_e32 v19, v19, v21
	v_fma_f32 v21, v12, s6, -v20
	v_fmac_f32_e32 v41, 0xbf3f9e67, v13
	v_add_f32_e32 v21, v21, v27
	v_mul_f32_e32 v27, 0x3f7e222b, v14
	v_fmac_f32_e32 v20, 0x3df6dbef, v12
	v_add_f32_e32 v25, v41, v25
	v_mov_b32_e32 v41, v27
	v_add_f32_e32 v20, v20, v23
	v_fma_f32 v23, v13, s6, -v27
	v_mul_f32_e32 v27, 0xbf52af12, v15
	v_add_f32_e32 v23, v23, v28
	v_fma_f32 v28, v12, s5, -v27
	v_fmac_f32_e32 v41, 0x3df6dbef, v13
	v_add_f32_e32 v28, v28, v31
	v_mul_f32_e32 v31, 0xbf52af12, v14
	v_add_f32_e32 v30, v41, v30
	v_mov_b32_e32 v41, v31
	v_fmac_f32_e32 v27, 0x3f116cb1, v12
	v_fmac_f32_e32 v41, 0x3f116cb1, v13
	v_add_f32_e32 v27, v27, v29
	v_fma_f32 v29, v13, s5, -v31
	v_mul_f32_e32 v31, 0x3e750f2a, v15
	v_add_f32_e32 v41, v41, v42
	v_add_f32_e32 v29, v29, v39
	v_fma_f32 v39, v12, s9, -v31
	v_mul_f32_e32 v42, 0x3e750f2a, v14
	v_fmac_f32_e32 v31, 0xbf788fa5, v12
	v_add_f32_e32 v39, v39, v44
	v_mov_b32_e32 v44, v42
	v_add_f32_e32 v31, v31, v40
	v_fma_f32 v40, v13, s9, -v42
	v_mul_f32_e32 v42, 0x3eedf032, v15
	v_add_f32_e32 v40, v40, v46
	v_fma_f32 v46, v12, s4, -v42
	v_fmac_f32_e32 v42, 0x3f62ad3f, v12
	v_mul_f32_e32 v15, 0xbf6f5d39, v15
	v_mul_f32_e32 v47, 0x3eedf032, v14
	v_add_f32_e32 v42, v42, v48
	v_fma_f32 v48, v12, s7, -v15
	v_mul_f32_e32 v14, 0xbf6f5d39, v14
	v_fmac_f32_e32 v15, 0xbeb58ec6, v12
	v_add_f32_e32 v11, v15, v11
	v_fma_f32 v12, v13, s7, -v14
	v_sub_f32_e32 v15, v43, v45
	v_fmac_f32_e32 v44, 0xbf788fa5, v13
	v_add_f32_e32 v46, v46, v50
	v_mov_b32_e32 v50, v14
	v_add_f32_e32 v8, v12, v8
	v_add_f32_e32 v12, v22, v18
	v_sub_f32_e32 v14, v22, v18
	v_mul_f32_e32 v18, 0xbe750f2a, v15
	v_add_f32_e32 v44, v44, v49
	v_mov_b32_e32 v49, v47
	v_fma_f32 v22, v12, s9, -v18
	v_fmac_f32_e32 v49, 0x3f62ad3f, v13
	v_fma_f32 v47, v13, s4, -v47
	v_fmac_f32_e32 v50, 0xbeb58ec6, v13
	v_add_f32_e32 v13, v43, v45
	v_add_f32_e32 v17, v22, v17
	v_mul_f32_e32 v22, 0xbe750f2a, v14
	v_fmac_f32_e32 v18, 0xbf788fa5, v12
	v_add_f32_e32 v16, v18, v16
	v_fma_f32 v18, v13, s9, -v22
	v_mov_b32_e32 v43, v22
	v_add_f32_e32 v22, v18, v19
	v_mul_f32_e32 v18, 0x3eedf032, v15
	v_fma_f32 v19, v12, s4, -v18
	v_fmac_f32_e32 v43, 0xbf788fa5, v13
	v_add_f32_e32 v19, v19, v21
	v_mul_f32_e32 v21, 0x3eedf032, v14
	v_fmac_f32_e32 v18, 0x3f62ad3f, v12
	v_add_f32_e32 v25, v43, v25
	v_mov_b32_e32 v43, v21
	v_add_f32_e32 v18, v18, v20
	v_fma_f32 v20, v13, s4, -v21
	v_mul_f32_e32 v21, 0xbf29c268, v15
	v_add_f32_e32 v20, v20, v23
	v_fma_f32 v23, v12, s8, -v21
	v_fmac_f32_e32 v43, 0x3f62ad3f, v13
	v_add_f32_e32 v23, v23, v28
	v_mul_f32_e32 v28, 0xbf29c268, v14
	v_fmac_f32_e32 v21, 0xbf3f9e67, v12
	v_add_f32_e32 v30, v43, v30
	v_mov_b32_e32 v43, v28
	v_add_f32_e32 v21, v21, v27
	v_fma_f32 v27, v13, s8, -v28
	v_mul_f32_e32 v28, 0x3f52af12, v15
	v_add_f32_e32 v27, v27, v29
	v_fma_f32 v29, v12, s5, -v28
	v_fmac_f32_e32 v43, 0xbf3f9e67, v13
	v_add_f32_e32 v29, v29, v39
	v_mul_f32_e32 v39, 0x3f52af12, v14
	v_add_f32_e32 v41, v43, v41
	v_mov_b32_e32 v43, v39
	v_fmac_f32_e32 v28, 0x3f116cb1, v12
	v_add_f32_e32 v26, v62, v26
	v_fmac_f32_e32 v43, 0x3f116cb1, v13
	v_add_f32_e32 v28, v28, v31
	v_fma_f32 v31, v13, s5, -v39
	v_mul_f32_e32 v39, 0xbf6f5d39, v15
	v_add_f32_e32 v26, v58, v26
	v_add_f32_e32 v43, v43, v44
	v_add_f32_e32 v31, v31, v40
	v_fma_f32 v40, v12, s7, -v39
	v_mul_f32_e32 v44, 0xbf6f5d39, v14
	v_mul_f32_e32 v14, 0x3f7e222b, v14
	v_add_f32_e32 v26, v54, v26
	v_add_f32_e32 v40, v40, v46
	v_fmac_f32_e32 v39, 0xbeb58ec6, v12
	v_mul_f32_e32 v15, 0x3f7e222b, v15
	v_mov_b32_e32 v46, v14
	v_add_f32_e32 v60, v60, v64
	v_add_f32_e32 v26, v50, v26
	v_mov_b32_e32 v45, v44
	v_add_f32_e32 v39, v39, v42
	v_fma_f32 v42, v13, s7, -v44
	v_fma_f32 v44, v12, s6, -v15
	v_fmac_f32_e32 v46, 0x3df6dbef, v13
	v_fmac_f32_e32 v15, 0x3df6dbef, v12
	v_fma_f32 v12, v13, s6, -v14
	v_add_f32_e32 v56, v56, v60
	v_add_f32_e32 v26, v46, v26
	;; [unrolled: 1-line block ×3, first 2 shown]
	v_mov_b32_e32 v8, 2
	v_add_f32_e32 v52, v52, v56
	v_lshlrev_b32_sdwa v8, v8, v10 dst_sel:DWORD dst_unused:UNUSED_PAD src0_sel:DWORD src1_sel:BYTE_0
	v_add_f32_e32 v48, v48, v52
	v_add_f32_e32 v11, v15, v11
	v_add3_u32 v38, v7, v8, v38
	v_fmac_f32_e32 v45, 0xbeb58ec6, v13
	v_add_f32_e32 v44, v44, v48
	ds_write2_b32 v38, v9, v17 offset1:7
	ds_write2_b32 v38, v19, v23 offset0:14 offset1:21
	ds_write2_b32 v38, v29, v40 offset0:28 offset1:35
	;; [unrolled: 1-line block ×5, first 2 shown]
	ds_write_b32 v38, v16 offset:336
	s_waitcnt lgkmcnt(0)
	s_barrier
	ds_read_b32 v19, v32
	ds_read2_b32 v[15:16], v0 offset0:91 offset1:182
	ds_read2_b32 v[11:12], v6 offset0:17 offset1:108
	;; [unrolled: 1-line block ×6, first 2 shown]
	v_add_f32_e32 v61, v61, v63
	v_add_f32_e32 v57, v57, v61
	;; [unrolled: 1-line block ×9, first 2 shown]
	s_waitcnt lgkmcnt(0)
	s_barrier
	ds_write2_b32 v38, v24, v25 offset1:7
	ds_write2_b32 v38, v30, v41 offset0:14 offset1:21
	ds_write2_b32 v38, v43, v45 offset0:28 offset1:35
	;; [unrolled: 1-line block ×5, first 2 shown]
	ds_write_b32 v38, v22 offset:336
	s_waitcnt lgkmcnt(0)
	s_barrier
	s_and_saveexec_b64 s[14:15], s[0:1]
	s_cbranch_execz .LBB0_21
; %bb.20:
	v_mul_u32_u24_e32 v6, 12, v36
	v_lshlrev_b32_e32 v6, 3, v6
	global_load_dwordx4 v[22:25], v6, s[12:13] offset:752
	global_load_dwordx4 v[26:29], v6, s[12:13] offset:672
	;; [unrolled: 1-line block ×6, first 2 shown]
	v_add_u32_e32 v49, 0xe00, v0
	v_add_u32_e32 v53, 0x400, v0
	;; [unrolled: 1-line block ×3, first 2 shown]
	v_mul_lo_u32 v20, s3, v4
	v_mul_lo_u32 v21, s2, v5
	v_mad_u64_u32 v[5:6], s[0:1], s2, v4, 0
	ds_read2_b32 v[30:31], v0 offset0:91 offset1:182
	ds_read_b32 v4, v32
	v_add_u32_e32 v32, 0xc00, v0
	v_add_u32_e32 v0, 0x600, v0
	ds_read2_b32 v[49:50], v49 offset0:105 offset1:196
	ds_read2_b32 v[51:52], v32 offset0:51 offset1:142
	;; [unrolled: 1-line block ×5, first 2 shown]
	v_add3_u32 v6, v6, v21, v20
	v_lshlrev_b64 v[5:6], 3, v[5:6]
	s_movk_i32 s0, 0x1000
	v_add_co_u32_e32 v5, vcc, s10, v5
	s_waitcnt vmcnt(5)
	v_mul_f32_e32 v0, v18, v25
	s_waitcnt vmcnt(4)
	v_mul_f32_e32 v59, v15, v27
	v_mul_f32_e32 v20, v17, v23
	v_mul_f32_e32 v60, v16, v29
	s_waitcnt lgkmcnt(4)
	v_fmac_f32_e32 v0, v50, v24
	s_waitcnt vmcnt(0)
	v_mul_f32_e32 v64, v9, v46
	s_waitcnt lgkmcnt(0)
	v_mul_f32_e32 v46, v57, v46
	v_fmac_f32_e32 v59, v30, v26
	v_mul_f32_e32 v27, v30, v27
	v_mul_f32_e32 v25, v50, v25
	;; [unrolled: 1-line block ×5, first 2 shown]
	v_fmac_f32_e32 v20, v49, v22
	v_fmac_f32_e32 v60, v31, v28
	;; [unrolled: 1-line block ×3, first 2 shown]
	v_fma_f32 v45, v9, v45, -v46
	v_add_f32_e32 v9, v0, v59
	v_mul_f32_e32 v29, v31, v29
	v_mul_f32_e32 v23, v49, v23
	;; [unrolled: 1-line block ×8, first 2 shown]
	v_fma_f32 v49, v15, v26, -v27
	v_fma_f32 v50, v18, v24, -v25
	v_fmac_f32_e32 v21, v52, v35
	v_fmac_f32_e32 v61, v53, v37
	v_fma_f32 v37, v11, v37, -v32
	v_add_f32_e32 v11, v20, v60
	v_mul_f32_e32 v32, 0x3f116cb1, v9
	v_mul_f32_e32 v36, v52, v36
	v_fma_f32 v65, v16, v28, -v29
	v_fma_f32 v66, v17, v22, -v23
	v_fmac_f32_e32 v38, v51, v33
	v_fmac_f32_e32 v62, v54, v39
	v_fma_f32 v39, v12, v39, -v40
	v_fma_f32 v40, v13, v33, -v34
	v_fmac_f32_e32 v63, v56, v43
	v_fma_f32 v43, v8, v43, -v44
	v_sub_f32_e32 v34, v49, v50
	v_add_f32_e32 v12, v21, v61
	v_mul_f32_e32 v33, 0xbeb58ec6, v11
	v_mov_b32_e32 v8, v32
	v_fma_f32 v36, v14, v35, -v36
	v_sub_f32_e32 v35, v65, v66
	v_add_f32_e32 v13, v38, v62
	v_mul_f32_e32 v52, 0xbf788fa5, v12
	v_mov_b32_e32 v15, v33
	v_fmac_f32_e32 v8, 0x3f52af12, v34
	v_sub_f32_e32 v44, v37, v36
	v_add_f32_e32 v14, v63, v64
	v_mul_f32_e32 v53, 0xbf3f9e67, v13
	v_mov_b32_e32 v16, v52
	v_fmac_f32_e32 v15, 0x3f6f5d39, v35
	v_add_f32_e32 v8, v4, v8
	v_sub_f32_e32 v46, v39, v40
	v_mul_f32_e32 v54, 0x3df6dbef, v14
	v_mov_b32_e32 v17, v53
	v_fmac_f32_e32 v16, 0x3e750f2a, v44
	v_add_f32_e32 v8, v8, v15
	v_sub_f32_e32 v51, v45, v43
	v_fmac_f32_e32 v17, 0xbf29c268, v46
	v_add_f32_e32 v8, v8, v16
	v_mov_b32_e32 v15, v54
	v_add_f32_e32 v8, v8, v17
	v_fmac_f32_e32 v15, 0xbf7e222b, v51
	v_mul_f32_e32 v56, v7, v42
	v_mul_f32_e32 v57, v10, v48
	v_add_f32_e32 v8, v8, v15
	v_fmac_f32_e32 v56, v55, v41
	v_fmac_f32_e32 v57, v58, v47
	v_mul_f32_e32 v15, v58, v48
	v_add_f32_e32 v67, v56, v57
	v_fma_f32 v10, v10, v47, -v15
	v_mul_f32_e32 v15, v55, v42
	v_mul_f32_e32 v68, 0x3f62ad3f, v67
	v_fma_f32 v41, v7, v41, -v15
	v_sub_f32_e32 v42, v10, v41
	v_mov_b32_e32 v7, v68
	v_sub_f32_e32 v48, v59, v0
	v_fmac_f32_e32 v7, 0xbeedf032, v42
	v_mul_f32_e32 v55, 0xbf52af12, v48
	v_sub_f32_e32 v69, v60, v20
	v_add_f32_e32 v8, v8, v7
	v_add_f32_e32 v47, v50, v49
	v_mov_b32_e32 v7, v55
	v_mul_f32_e32 v70, 0xbf6f5d39, v69
	v_fmac_f32_e32 v7, 0x3f116cb1, v47
	v_add_f32_e32 v58, v66, v65
	v_mov_b32_e32 v15, v70
	v_sub_f32_e32 v72, v61, v21
	v_add_f32_e32 v7, v19, v7
	v_fmac_f32_e32 v15, 0xbeb58ec6, v58
	v_mul_f32_e32 v73, 0xbe750f2a, v72
	v_add_f32_e32 v7, v7, v15
	v_add_f32_e32 v71, v36, v37
	v_mov_b32_e32 v15, v73
	v_sub_f32_e32 v75, v62, v38
	v_fmac_f32_e32 v15, 0xbf788fa5, v71
	v_mul_f32_e32 v76, 0x3f29c268, v75
	v_add_f32_e32 v7, v7, v15
	v_add_f32_e32 v74, v40, v39
	v_mov_b32_e32 v15, v76
	v_sub_f32_e32 v78, v64, v63
	;; [unrolled: 6-line block ×3, first 2 shown]
	v_fmac_f32_e32 v15, 0x3df6dbef, v77
	v_mul_f32_e32 v82, 0x3eedf032, v81
	v_add_f32_e32 v7, v7, v15
	v_add_f32_e32 v80, v41, v10
	v_mov_b32_e32 v15, v82
	v_fmac_f32_e32 v15, 0x3f62ad3f, v80
	v_mul_f32_e32 v28, 0xbeb58ec6, v9
	v_add_f32_e32 v7, v7, v15
	v_mov_b32_e32 v15, v28
	v_mul_f32_e32 v29, 0xbf3f9e67, v11
	v_fmac_f32_e32 v15, 0x3f6f5d39, v34
	v_mov_b32_e32 v16, v29
	v_add_f32_e32 v15, v4, v15
	v_fmac_f32_e32 v16, 0xbf29c268, v35
	v_mul_f32_e32 v30, 0x3f62ad3f, v12
	v_add_f32_e32 v15, v15, v16
	v_mov_b32_e32 v16, v30
	v_fmac_f32_e32 v16, 0xbeedf032, v44
	v_mul_f32_e32 v31, 0x3df6dbef, v13
	v_add_f32_e32 v15, v15, v16
	v_mov_b32_e32 v16, v31
	;; [unrolled: 4-line block ×4, first 2 shown]
	v_mul_f32_e32 v85, 0x3f29c268, v69
	v_fmac_f32_e32 v16, 0xbeb58ec6, v47
	v_mov_b32_e32 v17, v85
	v_add_f32_e32 v16, v19, v16
	v_fmac_f32_e32 v17, 0xbf3f9e67, v58
	v_mul_f32_e32 v86, 0x3eedf032, v72
	v_add_f32_e32 v16, v16, v17
	v_mov_b32_e32 v17, v86
	v_fmac_f32_e32 v17, 0x3f62ad3f, v71
	v_mul_f32_e32 v87, 0xbf7e222b, v75
	v_add_f32_e32 v16, v16, v17
	v_mov_b32_e32 v17, v87
	;; [unrolled: 4-line block ×6, first 2 shown]
	v_mul_f32_e32 v27, 0x3df6dbef, v11
	v_fmac_f32_e32 v17, 0x3f29c268, v34
	v_mov_b32_e32 v18, v27
	v_add_f32_e32 v17, v4, v17
	v_fmac_f32_e32 v18, 0xbf7e222b, v35
	v_mul_f32_e32 v91, 0x3f116cb1, v12
	v_add_f32_e32 v17, v17, v18
	v_mov_b32_e32 v18, v91
	v_fmac_f32_e32 v18, 0x3f52af12, v44
	v_mul_f32_e32 v92, 0xbf788fa5, v13
	v_add_f32_e32 v17, v17, v18
	v_mov_b32_e32 v18, v92
	;; [unrolled: 4-line block ×3, first 2 shown]
	v_fmac_f32_e32 v18, 0xbeedf032, v51
	v_mul_f32_e32 v94, 0xbf29c268, v48
	v_add_f32_e32 v59, v4, v59
	v_add_f32_e32 v17, v17, v18
	v_mov_b32_e32 v18, v94
	v_mul_f32_e32 v95, 0x3f7e222b, v69
	v_add_f32_e32 v59, v59, v60
	v_fmac_f32_e32 v18, 0xbf3f9e67, v47
	v_mov_b32_e32 v22, v95
	v_add_f32_e32 v59, v59, v61
	v_add_f32_e32 v18, v19, v18
	v_fmac_f32_e32 v22, 0x3df6dbef, v58
	v_mul_f32_e32 v96, 0xbf52af12, v72
	v_add_f32_e32 v59, v59, v62
	v_add_f32_e32 v18, v18, v22
	v_mov_b32_e32 v22, v96
	v_fmac_f32_e32 v28, 0xbf6f5d39, v34
	v_add_f32_e32 v59, v59, v64
	v_fmac_f32_e32 v22, 0x3f116cb1, v71
	v_mul_f32_e32 v97, 0x3e750f2a, v75
	v_add_f32_e32 v28, v4, v28
	v_fmac_f32_e32 v29, 0x3f29c268, v35
	v_add_f32_e32 v57, v59, v57
	v_add_f32_e32 v18, v18, v22
	v_mov_b32_e32 v22, v97
	v_add_f32_e32 v28, v28, v29
	v_fmac_f32_e32 v30, 0x3eedf032, v44
	v_fma_f32 v29, v47, s7, -v84
	v_add_f32_e32 v56, v56, v57
	v_fmac_f32_e32 v22, 0xbf788fa5, v74
	v_mul_f32_e32 v98, 0x3eedf032, v78
	v_add_f32_e32 v28, v28, v30
	v_add_f32_e32 v29, v19, v29
	v_fma_f32 v30, v58, s8, -v85
	v_add_f32_e32 v56, v63, v56
	v_add_f32_e32 v18, v18, v22
	v_mov_b32_e32 v22, v98
	v_fmac_f32_e32 v31, 0xbf7e222b, v46
	v_add_f32_e32 v29, v29, v30
	v_fma_f32 v30, v71, s4, -v86
	v_add_f32_e32 v38, v38, v56
	v_fmac_f32_e32 v22, 0x3f62ad3f, v77
	v_mul_f32_e32 v99, 0xbeb58ec6, v67
	v_add_f32_e32 v28, v28, v31
	v_fmac_f32_e32 v83, 0x3e750f2a, v51
	v_add_f32_e32 v29, v29, v30
	v_fma_f32 v30, v74, s6, -v87
	v_add_f32_e32 v21, v21, v38
	v_add_f32_e32 v22, v18, v22
	v_mov_b32_e32 v18, v99
	v_add_f32_e32 v28, v28, v83
	v_add_f32_e32 v29, v29, v30
	v_fma_f32 v30, v77, s9, -v88
	v_fmac_f32_e32 v89, 0x3f52af12, v42
	v_add_f32_e32 v20, v20, v21
	v_add_f32_e32 v21, v19, v49
	v_fmac_f32_e32 v18, 0x3f6f5d39, v42
	v_mul_f32_e32 v100, 0xbf6f5d39, v81
	v_add_f32_e32 v30, v29, v30
	v_add_f32_e32 v29, v28, v89
	v_fma_f32 v28, v80, s5, -v90
	v_mul_f32_e32 v83, 0xbf7e222b, v34
	v_add_f32_e32 v21, v21, v65
	v_add_f32_e32 v18, v17, v18
	v_mov_b32_e32 v17, v100
	v_add_f32_e32 v28, v30, v28
	v_mov_b32_e32 v30, v83
	v_mul_f32_e32 v84, 0xbe750f2a, v35
	v_add_f32_e32 v21, v21, v37
	v_fmac_f32_e32 v17, 0xbeb58ec6, v80
	v_mul_f32_e32 v24, 0xbf788fa5, v9
	v_fmac_f32_e32 v30, 0x3df6dbef, v9
	v_mov_b32_e32 v31, v84
	v_add_f32_e32 v21, v21, v39
	v_add_f32_e32 v17, v22, v17
	v_mov_b32_e32 v22, v24
	v_mul_f32_e32 v25, 0x3f62ad3f, v11
	v_add_f32_e32 v30, v4, v30
	v_fmac_f32_e32 v31, 0xbf788fa5, v11
	v_mul_f32_e32 v85, 0x3f6f5d39, v44
	v_fmac_f32_e32 v32, 0xbf52af12, v34
	v_add_f32_e32 v21, v21, v45
	v_fmac_f32_e32 v22, 0x3e750f2a, v34
	v_mov_b32_e32 v23, v25
	v_add_f32_e32 v30, v30, v31
	v_mov_b32_e32 v31, v85
	v_add_f32_e32 v32, v4, v32
	v_fmac_f32_e32 v33, 0xbf6f5d39, v35
	v_add_f32_e32 v10, v21, v10
	v_add_f32_e32 v22, v4, v22
	v_fmac_f32_e32 v23, 0xbeedf032, v35
	v_mul_f32_e32 v101, 0xbf3f9e67, v12
	v_fmac_f32_e32 v26, 0xbf29c268, v34
	v_fmac_f32_e32 v31, 0xbeb58ec6, v12
	v_mul_f32_e32 v86, 0x3eedf032, v46
	v_add_f32_e32 v32, v32, v33
	v_fmac_f32_e32 v52, 0xbe750f2a, v44
	v_fma_f32 v33, v47, s5, -v55
	v_add_f32_e32 v21, v0, v20
	v_add_f32_e32 v0, v41, v10
	;; [unrolled: 1-line block ×3, first 2 shown]
	v_mov_b32_e32 v23, v101
	v_add_f32_e32 v26, v4, v26
	v_fmac_f32_e32 v27, 0x3f7e222b, v35
	v_add_f32_e32 v30, v30, v31
	v_mov_b32_e32 v31, v86
	v_add_f32_e32 v32, v32, v52
	v_add_f32_e32 v33, v19, v33
	v_fma_f32 v52, v58, s7, -v70
	v_add_f32_e32 v0, v43, v0
	v_fmac_f32_e32 v23, 0x3f29c268, v44
	v_mul_f32_e32 v102, 0x3f116cb1, v13
	v_add_f32_e32 v26, v26, v27
	v_fmac_f32_e32 v91, 0xbf52af12, v44
	v_fma_f32 v27, v47, s8, -v94
	v_fmac_f32_e32 v31, 0x3f62ad3f, v13
	v_mul_f32_e32 v87, 0xbf52af12, v51
	v_fmac_f32_e32 v53, 0x3f29c268, v46
	v_add_f32_e32 v33, v33, v52
	v_fma_f32 v52, v71, s9, -v73
	v_add_f32_e32 v0, v40, v0
	v_add_f32_e32 v22, v22, v23
	v_mov_b32_e32 v23, v102
	v_add_f32_e32 v26, v26, v91
	v_add_f32_e32 v27, v19, v27
	v_fma_f32 v91, v58, s6, -v95
	v_add_f32_e32 v30, v30, v31
	v_mov_b32_e32 v31, v87
	v_add_f32_e32 v32, v32, v53
	v_fmac_f32_e32 v54, 0x3f7e222b, v51
	v_add_f32_e32 v33, v33, v52
	v_fma_f32 v52, v74, s8, -v76
	v_add_f32_e32 v0, v36, v0
	v_fmac_f32_e32 v23, 0xbf52af12, v46
	v_mul_f32_e32 v103, 0xbeb58ec6, v14
	v_fmac_f32_e32 v92, 0x3e750f2a, v46
	v_add_f32_e32 v27, v27, v91
	v_fma_f32 v91, v71, s5, -v96
	v_fmac_f32_e32 v31, 0x3f116cb1, v14
	v_mul_f32_e32 v88, 0xbf7e222b, v48
	v_add_f32_e32 v32, v32, v54
	v_add_f32_e32 v33, v33, v52
	v_fma_f32 v52, v77, s6, -v79
	v_fmac_f32_e32 v68, 0x3eedf032, v42
	v_add_f32_e32 v0, v66, v0
	v_add_f32_e32 v22, v22, v23
	v_mov_b32_e32 v23, v103
	v_add_f32_e32 v26, v26, v92
	v_fmac_f32_e32 v93, 0x3eedf032, v51
	v_add_f32_e32 v27, v27, v91
	v_fma_f32 v91, v74, s9, -v97
	v_add_f32_e32 v30, v30, v31
	v_fma_f32 v31, v47, s6, -v88
	v_mul_f32_e32 v89, 0xbe750f2a, v69
	v_add_f32_e32 v52, v33, v52
	v_add_f32_e32 v33, v32, v68
	v_fma_f32 v32, v80, s4, -v82
	v_add_f32_e32 v20, v50, v0
	v_fma_f32 v0, v9, s6, -v83
	v_fmac_f32_e32 v23, 0x3f6f5d39, v51
	v_mul_f32_e32 v104, 0xbe750f2a, v48
	v_add_f32_e32 v26, v26, v93
	v_add_f32_e32 v27, v27, v91
	v_fma_f32 v91, v77, s4, -v98
	v_fmac_f32_e32 v99, 0xbf6f5d39, v42
	v_add_f32_e32 v31, v19, v31
	v_fma_f32 v90, v58, s9, -v89
	v_add_f32_e32 v32, v52, v32
	v_mul_f32_e32 v52, 0xbeedf032, v34
	v_add_f32_e32 v0, v4, v0
	v_fma_f32 v10, v11, s9, -v84
	v_add_f32_e32 v22, v22, v23
	v_mov_b32_e32 v23, v104
	v_mul_f32_e32 v105, 0x3eedf032, v69
	v_fmac_f32_e32 v24, 0xbe750f2a, v34
	v_add_f32_e32 v91, v27, v91
	v_add_f32_e32 v27, v26, v99
	v_fma_f32 v26, v80, s7, -v100
	v_add_f32_e32 v31, v31, v90
	v_mul_f32_e32 v90, 0x3f6f5d39, v72
	v_mov_b32_e32 v34, v52
	v_mul_f32_e32 v53, 0xbf52af12, v35
	v_add_f32_e32 v0, v0, v10
	v_fma_f32 v10, v12, s7, -v85
	v_fmac_f32_e32 v23, 0xbf788fa5, v47
	v_mov_b32_e32 v106, v105
	v_fmac_f32_e32 v25, 0x3eedf032, v35
	v_add_f32_e32 v26, v91, v26
	v_fma_f32 v91, v71, s7, -v90
	v_fmac_f32_e32 v34, 0x3f62ad3f, v9
	v_mov_b32_e32 v35, v53
	v_add_f32_e32 v0, v0, v10
	v_fma_f32 v10, v13, s4, -v86
	v_add_f32_e32 v23, v19, v23
	v_fmac_f32_e32 v106, 0x3f62ad3f, v58
	v_fmac_f32_e32 v101, 0xbf29c268, v44
	v_add_f32_e32 v31, v31, v91
	v_mul_f32_e32 v91, 0x3eedf032, v75
	v_mul_f32_e32 v94, 0xbf29c268, v42
	v_add_f32_e32 v34, v4, v34
	v_fmac_f32_e32 v35, 0x3f116cb1, v11
	v_mul_f32_e32 v44, 0xbf7e222b, v44
	v_add_f32_e32 v0, v0, v10
	v_fma_f32 v10, v14, s5, -v87
	v_add_f32_e32 v23, v23, v106
	v_mul_f32_e32 v106, 0xbf29c268, v72
	v_fma_f32 v92, v74, s4, -v91
	v_add_f32_e32 v34, v34, v35
	v_mov_b32_e32 v35, v44
	v_add_f32_e32 v0, v0, v10
	v_fma_f32 v10, v67, s8, -v94
	v_fmac_f32_e32 v88, 0x3df6dbef, v47
	v_mov_b32_e32 v107, v106
	v_fmac_f32_e32 v102, 0x3f52af12, v46
	v_add_f32_e32 v31, v31, v92
	v_mul_f32_e32 v92, 0xbf52af12, v78
	v_fmac_f32_e32 v35, 0x3df6dbef, v12
	v_mul_f32_e32 v46, 0xbf6f5d39, v46
	v_add_f32_e32 v37, v0, v10
	v_add_f32_e32 v0, v19, v88
	v_fmac_f32_e32 v89, 0xbf788fa5, v58
	v_fmac_f32_e32 v107, 0xbf3f9e67, v71
	v_fma_f32 v93, v77, s5, -v92
	v_add_f32_e32 v34, v34, v35
	v_mov_b32_e32 v35, v46
	v_add_f32_e32 v0, v0, v89
	v_fmac_f32_e32 v90, 0xbeb58ec6, v71
	v_add_f32_e32 v23, v23, v107
	v_mul_f32_e32 v107, 0x3f52af12, v75
	v_fmac_f32_e32 v103, 0xbf6f5d39, v51
	v_add_f32_e32 v93, v31, v93
	v_mov_b32_e32 v31, v94
	v_fmac_f32_e32 v35, 0xbeb58ec6, v13
	v_mul_f32_e32 v51, 0xbf29c268, v51
	v_add_f32_e32 v0, v0, v90
	v_fmac_f32_e32 v91, 0x3f62ad3f, v74
	v_mov_b32_e32 v108, v107
	v_fmac_f32_e32 v31, 0xbf3f9e67, v67
	v_mul_f32_e32 v95, 0xbf29c268, v81
	v_add_f32_e32 v34, v34, v35
	v_mov_b32_e32 v35, v51
	v_add_f32_e32 v0, v0, v91
	v_fmac_f32_e32 v92, 0x3f116cb1, v77
	v_fmac_f32_e32 v108, 0x3f116cb1, v74
	v_add_f32_e32 v31, v30, v31
	v_fma_f32 v30, v80, s8, -v95
	v_fmac_f32_e32 v35, 0xbf3f9e67, v14
	v_mul_f32_e32 v48, 0xbeedf032, v48
	v_add_f32_e32 v0, v0, v92
	v_fmac_f32_e32 v95, 0xbf3f9e67, v80
	v_add_f32_e32 v23, v23, v108
	v_mul_f32_e32 v108, 0xbf6f5d39, v78
	v_add_f32_e32 v34, v34, v35
	v_fma_f32 v35, v47, s4, -v48
	v_mul_f32_e32 v54, 0xbf52af12, v69
	v_add_f32_e32 v36, v0, v95
	v_fma_f32 v0, v9, s4, -v52
	v_mov_b32_e32 v109, v108
	v_add_f32_e32 v24, v4, v24
	v_add_f32_e32 v35, v19, v35
	v_fma_f32 v55, v58, s5, -v54
	v_add_f32_e32 v0, v4, v0
	v_fma_f32 v4, v11, s5, -v53
	v_fmac_f32_e32 v109, 0xbeb58ec6, v77
	v_mul_f32_e32 v110, 0x3df6dbef, v67
	v_add_f32_e32 v35, v35, v55
	v_mul_f32_e32 v55, 0xbf7e222b, v72
	v_add_f32_e32 v0, v0, v4
	v_fma_f32 v4, v12, s6, -v44
	v_add_f32_e32 v109, v23, v109
	v_mov_b32_e32 v23, v110
	v_fma_f32 v68, v71, s6, -v55
	v_add_f32_e32 v0, v0, v4
	v_fma_f32 v4, v13, s7, -v46
	v_fmac_f32_e32 v23, 0xbf7e222b, v42
	v_fmac_f32_e32 v110, 0x3f7e222b, v42
	v_add_f32_e32 v35, v35, v68
	v_mul_f32_e32 v68, 0xbf6f5d39, v75
	v_mul_f32_e32 v42, 0xbe750f2a, v42
	v_add_f32_e32 v0, v0, v4
	v_fma_f32 v4, v14, s8, -v51
	v_fma_f32 v69, v74, s7, -v68
	v_add_f32_e32 v0, v0, v4
	v_fma_f32 v4, v67, s9, -v42
	v_fmac_f32_e32 v48, 0x3f62ad3f, v47
	v_add_f32_e32 v35, v35, v69
	v_mul_f32_e32 v69, 0xbf29c268, v78
	v_add_f32_e32 v10, v0, v4
	v_add_f32_e32 v0, v19, v48
	v_fmac_f32_e32 v54, 0x3f116cb1, v58
	v_fma_f32 v70, v77, s8, -v69
	v_add_f32_e32 v0, v0, v54
	v_fmac_f32_e32 v55, 0x3df6dbef, v71
	v_add_f32_e32 v70, v35, v70
	v_mov_b32_e32 v35, v42
	v_add_f32_e32 v0, v0, v55
	v_fmac_f32_e32 v68, 0xbeb58ec6, v74
	v_fmac_f32_e32 v35, 0xbf788fa5, v67
	v_mul_f32_e32 v72, 0xbe750f2a, v81
	v_add_f32_e32 v0, v0, v68
	v_fmac_f32_e32 v69, 0xbf3f9e67, v77
	v_add_f32_e32 v35, v34, v35
	v_fma_f32 v34, v80, s9, -v72
	v_add_f32_e32 v0, v0, v69
	v_fmac_f32_e32 v72, 0xbf788fa5, v80
	v_add_f32_e32 v9, v0, v72
	v_mov_b32_e32 v0, s11
	v_addc_co_u32_e32 v6, vcc, v0, v6, vcc
	v_lshlrev_b64 v[0:1], 3, v[1:2]
	v_mov_b32_e32 v4, 0
	v_add_co_u32_e32 v2, vcc, v5, v0
	v_addc_co_u32_e32 v5, vcc, v6, v1, vcc
	v_lshlrev_b64 v[0:1], 3, v[3:4]
	v_add_f32_e32 v24, v24, v25
	v_fma_f32 v25, v47, s9, -v104
	v_add_f32_e32 v24, v24, v101
	v_add_f32_e32 v25, v19, v25
	v_fma_f32 v101, v58, s4, -v105
	v_add_co_u32_e32 v0, vcc, v2, v0
	v_add_f32_e32 v25, v25, v101
	v_fma_f32 v101, v71, s8, -v106
	v_addc_co_u32_e32 v1, vcc, v5, v1, vcc
	v_add_f32_e32 v24, v24, v102
	v_add_f32_e32 v25, v25, v101
	v_fma_f32 v101, v74, s5, -v107
	v_add_co_u32_e32 v2, vcc, s0, v0
	v_mul_f32_e32 v111, 0x3f7e222b, v81
	v_add_f32_e32 v24, v24, v103
	v_add_f32_e32 v25, v25, v101
	v_fma_f32 v101, v77, s7, -v108
	v_addc_co_u32_e32 v3, vcc, 0, v1, vcc
	v_add_f32_e32 v23, v22, v23
	v_mov_b32_e32 v22, v111
	v_add_f32_e32 v101, v25, v101
	v_add_f32_e32 v25, v24, v110
	v_fma_f32 v24, v80, s6, -v111
	v_add_f32_e32 v30, v93, v30
	v_add_f32_e32 v34, v70, v34
	global_store_dwordx2 v[0:1], v[20:21], off
	global_store_dwordx2 v[0:1], v[34:35], off offset:728
	global_store_dwordx2 v[0:1], v[32:33], off offset:1456
	;; [unrolled: 1-line block ×5, first 2 shown]
	v_add_co_u32_e32 v0, vcc, 0x2000, v0
	v_fmac_f32_e32 v22, 0x3df6dbef, v80
	v_add_f32_e32 v24, v101, v24
	v_addc_co_u32_e32 v1, vcc, 0, v1, vcc
	v_add_f32_e32 v22, v109, v22
	global_store_dwordx2 v[2:3], v[24:25], off offset:272
	global_store_dwordx2 v[2:3], v[22:23], off offset:1000
	global_store_dwordx2 v[2:3], v[17:18], off offset:1728
	global_store_dwordx2 v[2:3], v[15:16], off offset:2456
	global_store_dwordx2 v[2:3], v[36:37], off offset:3184
	global_store_dwordx2 v[2:3], v[7:8], off offset:3912
	global_store_dwordx2 v[0:1], v[9:10], off offset:544
.LBB0_21:
	s_endpgm
	.section	.rodata,"a",@progbits
	.p2align	6, 0x0
	.amdhsa_kernel fft_rtc_fwd_len1183_factors_7_13_13_wgs_182_tpt_91_halfLds_sp_op_CI_CI_unitstride_sbrr_dirReg
		.amdhsa_group_segment_fixed_size 0
		.amdhsa_private_segment_fixed_size 0
		.amdhsa_kernarg_size 104
		.amdhsa_user_sgpr_count 6
		.amdhsa_user_sgpr_private_segment_buffer 1
		.amdhsa_user_sgpr_dispatch_ptr 0
		.amdhsa_user_sgpr_queue_ptr 0
		.amdhsa_user_sgpr_kernarg_segment_ptr 1
		.amdhsa_user_sgpr_dispatch_id 0
		.amdhsa_user_sgpr_flat_scratch_init 0
		.amdhsa_user_sgpr_private_segment_size 0
		.amdhsa_uses_dynamic_stack 0
		.amdhsa_system_sgpr_private_segment_wavefront_offset 0
		.amdhsa_system_sgpr_workgroup_id_x 1
		.amdhsa_system_sgpr_workgroup_id_y 0
		.amdhsa_system_sgpr_workgroup_id_z 0
		.amdhsa_system_sgpr_workgroup_info 0
		.amdhsa_system_vgpr_workitem_id 0
		.amdhsa_next_free_vgpr 112
		.amdhsa_next_free_sgpr 28
		.amdhsa_reserve_vcc 1
		.amdhsa_reserve_flat_scratch 0
		.amdhsa_float_round_mode_32 0
		.amdhsa_float_round_mode_16_64 0
		.amdhsa_float_denorm_mode_32 3
		.amdhsa_float_denorm_mode_16_64 3
		.amdhsa_dx10_clamp 1
		.amdhsa_ieee_mode 1
		.amdhsa_fp16_overflow 0
		.amdhsa_exception_fp_ieee_invalid_op 0
		.amdhsa_exception_fp_denorm_src 0
		.amdhsa_exception_fp_ieee_div_zero 0
		.amdhsa_exception_fp_ieee_overflow 0
		.amdhsa_exception_fp_ieee_underflow 0
		.amdhsa_exception_fp_ieee_inexact 0
		.amdhsa_exception_int_div_zero 0
	.end_amdhsa_kernel
	.text
.Lfunc_end0:
	.size	fft_rtc_fwd_len1183_factors_7_13_13_wgs_182_tpt_91_halfLds_sp_op_CI_CI_unitstride_sbrr_dirReg, .Lfunc_end0-fft_rtc_fwd_len1183_factors_7_13_13_wgs_182_tpt_91_halfLds_sp_op_CI_CI_unitstride_sbrr_dirReg
                                        ; -- End function
	.section	.AMDGPU.csdata,"",@progbits
; Kernel info:
; codeLenInByte = 9608
; NumSgprs: 32
; NumVgprs: 112
; ScratchSize: 0
; MemoryBound: 0
; FloatMode: 240
; IeeeMode: 1
; LDSByteSize: 0 bytes/workgroup (compile time only)
; SGPRBlocks: 3
; VGPRBlocks: 27
; NumSGPRsForWavesPerEU: 32
; NumVGPRsForWavesPerEU: 112
; Occupancy: 2
; WaveLimiterHint : 1
; COMPUTE_PGM_RSRC2:SCRATCH_EN: 0
; COMPUTE_PGM_RSRC2:USER_SGPR: 6
; COMPUTE_PGM_RSRC2:TRAP_HANDLER: 0
; COMPUTE_PGM_RSRC2:TGID_X_EN: 1
; COMPUTE_PGM_RSRC2:TGID_Y_EN: 0
; COMPUTE_PGM_RSRC2:TGID_Z_EN: 0
; COMPUTE_PGM_RSRC2:TIDIG_COMP_CNT: 0
	.type	__hip_cuid_57dafc8848cfb41e,@object ; @__hip_cuid_57dafc8848cfb41e
	.section	.bss,"aw",@nobits
	.globl	__hip_cuid_57dafc8848cfb41e
__hip_cuid_57dafc8848cfb41e:
	.byte	0                               ; 0x0
	.size	__hip_cuid_57dafc8848cfb41e, 1

	.ident	"AMD clang version 19.0.0git (https://github.com/RadeonOpenCompute/llvm-project roc-6.4.0 25133 c7fe45cf4b819c5991fe208aaa96edf142730f1d)"
	.section	".note.GNU-stack","",@progbits
	.addrsig
	.addrsig_sym __hip_cuid_57dafc8848cfb41e
	.amdgpu_metadata
---
amdhsa.kernels:
  - .args:
      - .actual_access:  read_only
        .address_space:  global
        .offset:         0
        .size:           8
        .value_kind:     global_buffer
      - .offset:         8
        .size:           8
        .value_kind:     by_value
      - .actual_access:  read_only
        .address_space:  global
        .offset:         16
        .size:           8
        .value_kind:     global_buffer
      - .actual_access:  read_only
        .address_space:  global
        .offset:         24
        .size:           8
        .value_kind:     global_buffer
      - .actual_access:  read_only
        .address_space:  global
        .offset:         32
        .size:           8
        .value_kind:     global_buffer
      - .offset:         40
        .size:           8
        .value_kind:     by_value
      - .actual_access:  read_only
        .address_space:  global
        .offset:         48
        .size:           8
        .value_kind:     global_buffer
      - .actual_access:  read_only
        .address_space:  global
        .offset:         56
        .size:           8
        .value_kind:     global_buffer
      - .offset:         64
        .size:           4
        .value_kind:     by_value
      - .actual_access:  read_only
        .address_space:  global
        .offset:         72
        .size:           8
        .value_kind:     global_buffer
      - .actual_access:  read_only
        .address_space:  global
        .offset:         80
        .size:           8
        .value_kind:     global_buffer
      - .actual_access:  read_only
        .address_space:  global
        .offset:         88
        .size:           8
        .value_kind:     global_buffer
      - .actual_access:  write_only
        .address_space:  global
        .offset:         96
        .size:           8
        .value_kind:     global_buffer
    .group_segment_fixed_size: 0
    .kernarg_segment_align: 8
    .kernarg_segment_size: 104
    .language:       OpenCL C
    .language_version:
      - 2
      - 0
    .max_flat_workgroup_size: 182
    .name:           fft_rtc_fwd_len1183_factors_7_13_13_wgs_182_tpt_91_halfLds_sp_op_CI_CI_unitstride_sbrr_dirReg
    .private_segment_fixed_size: 0
    .sgpr_count:     32
    .sgpr_spill_count: 0
    .symbol:         fft_rtc_fwd_len1183_factors_7_13_13_wgs_182_tpt_91_halfLds_sp_op_CI_CI_unitstride_sbrr_dirReg.kd
    .uniform_work_group_size: 1
    .uses_dynamic_stack: false
    .vgpr_count:     112
    .vgpr_spill_count: 0
    .wavefront_size: 64
amdhsa.target:   amdgcn-amd-amdhsa--gfx906
amdhsa.version:
  - 1
  - 2
...

	.end_amdgpu_metadata
